;; amdgpu-corpus repo=ROCm/rocm-examples kind=compiled arch=gfx1201 opt=O3
	.amdgcn_target "amdgcn-amd-amdhsa--gfx1201"
	.amdhsa_code_object_version 6
	.text
	.protected	_Z12dlrm_dot_fwdPKDF16_PDF16_Pfjjjjjj ; -- Begin function _Z12dlrm_dot_fwdPKDF16_PDF16_Pfjjjjjj
	.globl	_Z12dlrm_dot_fwdPKDF16_PDF16_Pfjjjjjj
	.p2align	8
	.type	_Z12dlrm_dot_fwdPKDF16_PDF16_Pfjjjjjj,@function
_Z12dlrm_dot_fwdPKDF16_PDF16_Pfjjjjjj:  ; @_Z12dlrm_dot_fwdPKDF16_PDF16_Pfjjjjjj
; %bb.0:
	s_clause 0x3
	s_load_b32 s12, s[0:1], 0x3c
	s_load_b64 s[2:3], s[0:1], 0x18
	s_load_b96 s[8:10], s[0:1], 0x24
	s_load_b128 s[4:7], s[0:1], 0x0
	s_and_b32 s11, ttmp7, 0xffff
	v_and_b32_e32 v8, 0x3ff, v0
	s_or_b32 s13, ttmp9, s11
	s_wait_kmcnt 0x0
	s_and_b32 s14, s12, 0xffff
	s_cmp_lg_u32 s13, 0
	v_mad_co_u64_u32 v[1:2], null, ttmp9, s14, v[8:9]
	s_cselect_b32 s12, -1, 0
	s_cmp_lt_u32 s3, 0x80
	s_cselect_b32 s13, -1, 0
	s_delay_alu instid0(SALU_CYCLE_1) | instskip(NEXT) | instid1(SALU_CYCLE_1)
	s_or_b32 s12, s12, s13
	s_and_b32 vcc_lo, exec_lo, s12
	s_add_nc_u64 s[12:13], s[0:1], 48
	s_cbranch_vccnz .LBB0_5
; %bb.1:
	v_dual_mov_b32 v3, 0 :: v_dual_mov_b32 v4, v1
	s_lshr_b32 s17, ttmp7, 16
	s_lshr_b32 s15, s3, 7
	s_mul_i32 s16, s8, s17
	s_mul_i32 s17, s9, s17
	s_branch .LBB0_3
.LBB0_2:                                ;   in Loop: Header=BB0_3 Depth=1
	s_or_b32 exec_lo, exec_lo, s18
	v_add_nc_u32_e32 v4, s14, v4
	s_wait_alu 0xfffe
	s_add_co_i32 s15, s15, -1
	s_wait_alu 0xfffe
	s_cmp_lg_u32 s15, 0
	s_cbranch_scc0 .LBB0_5
.LBB0_3:                                ; =>This Inner Loop Header: Depth=1
	s_mov_b32 s18, exec_lo
	v_cmpx_gt_u32_e64 s3, v4
	s_cbranch_execz .LBB0_2
; %bb.4:                                ;   in Loop: Header=BB0_3 Depth=1
	v_add_nc_u32_e32 v2, s16, v4
	s_delay_alu instid0(VALU_DEP_1) | instskip(SKIP_1) | instid1(VALU_DEP_2)
	v_lshlrev_b64_e32 v[5:6], 1, v[2:3]
	v_add_nc_u32_e32 v2, s17, v4
	v_add_co_u32 v5, vcc_lo, s4, v5
	s_wait_alu 0xfffd
	s_delay_alu instid0(VALU_DEP_3) | instskip(SKIP_2) | instid1(VALU_DEP_1)
	v_add_co_ci_u32_e64 v6, null, s5, v6, vcc_lo
	global_load_u16 v7, v[5:6], off
	v_lshlrev_b64_e32 v[5:6], 1, v[2:3]
	v_add_co_u32 v5, vcc_lo, s6, v5
	s_wait_alu 0xfffd
	s_delay_alu instid0(VALU_DEP_2)
	v_add_co_ci_u32_e64 v6, null, s7, v6, vcc_lo
	s_wait_loadcnt 0x0
	global_store_b16 v[5:6], v7, off
	s_branch .LBB0_2
.LBB0_5:
	s_load_u16 s12, s[12:13], 0xe
	v_bfe_u32 v0, v0, 10, 10
	s_wait_kmcnt 0x0
	s_delay_alu instid0(VALU_DEP_1) | instskip(SKIP_2) | instid1(VALU_DEP_1)
	v_mad_co_u64_u32 v[2:3], null, s11, s12, v[0:1]
	v_lshrrev_b32_e32 v0, 1, v1
	s_mov_b32 s11, exec_lo
	v_and_b32_e32 v16, 0x7ffffff0, v0
	s_delay_alu instid0(VALU_DEP_3) | instskip(NEXT) | instid1(VALU_DEP_1)
	v_lshlrev_b32_e32 v9, 4, v2
	v_max_u32_e32 v0, v16, v9
	s_delay_alu instid0(VALU_DEP_1)
	v_cmpx_gt_u32_e64 s2, v0
	s_cbranch_execz .LBB0_28
; %bb.6:
	v_and_b32_e32 v17, 15, v8
	v_lshrrev_b32_e32 v18, 1, v8
	s_lshr_b32 s11, ttmp7, 16
	s_cmp_gt_u32 s3, 15
	s_cbranch_scc0 .LBB0_10
; %bb.7:
	v_dual_mov_b32 v1, 0 :: v_dual_and_b32 v10, 15, v8
	v_mul_lo_u32 v2, v16, s3
	v_and_b32_e32 v11, 8, v18
	v_mul_lo_u32 v0, v9, s3
	s_delay_alu instid0(VALU_DEP_4)
	v_mov_b32_e32 v3, v1
	s_wait_alu 0xfffe
	s_mul_i32 s12, s8, s11
	s_mov_b32 s13, 0
	v_mad_co_u64_u32 v[4:5], null, s3, v10, v[11:12]
	v_lshlrev_b64_e32 v[2:3], 1, v[2:3]
	v_mov_b32_e32 v5, v1
	s_wait_alu 0xfffe
	s_lshl_b64 s[12:13], s[12:13], 1
	v_lshlrev_b64_e32 v[6:7], 1, v[0:1]
	s_wait_alu 0xfffe
	v_add_co_u32 v0, vcc_lo, v2, s12
	s_wait_alu 0xfffd
	v_add_co_ci_u32_e64 v12, null, s13, v3, vcc_lo
	v_lshlrev_b64_e32 v[2:3], 1, v[4:5]
	v_add_co_u32 v4, vcc_lo, v6, s12
	s_wait_alu 0xfffd
	v_add_co_ci_u32_e64 v5, null, s13, v7, vcc_lo
	v_mov_b32_e32 v7, v1
	s_delay_alu instid0(VALU_DEP_4)
	v_add_co_u32 v0, vcc_lo, v0, v2
	s_wait_alu 0xfffd
	v_add_co_ci_u32_e64 v6, null, v12, v3, vcc_lo
	v_add_co_u32 v2, vcc_lo, v4, v2
	s_wait_alu 0xfffd
	v_add_co_ci_u32_e64 v3, null, v5, v3, vcc_lo
	;; [unrolled: 3-line block ×4, first 2 shown]
	v_mov_b32_e32 v0, v1
	v_dual_mov_b32 v2, v1 :: v_dual_mov_b32 v3, v1
	v_mov_b32_e32 v6, v1
	v_dual_mov_b32 v4, v1 :: v_dual_mov_b32 v5, v1
	s_lshr_b32 s4, s3, 4
.LBB0_8:                                ; =>This Inner Loop Header: Depth=1
	s_wait_storecnt 0x0
	s_barrier_signal -1
	s_barrier_wait -1
	global_inv scope:SCOPE_SE
	global_load_b128 v[19:22], v[12:13], off
	global_load_b128 v[23:26], v[14:15], off
	v_add_co_u32 v12, vcc_lo, v12, 32
	s_wait_alu 0xfffd
	v_add_co_ci_u32_e64 v13, null, 0, v13, vcc_lo
	v_add_co_u32 v14, vcc_lo, v14, 32
	s_wait_alu 0xfffd
	v_add_co_ci_u32_e64 v15, null, 0, v15, vcc_lo
	s_wait_alu 0xfffe
	s_add_co_i32 s4, s4, -1
	s_wait_alu 0xfffe
	s_cmp_eq_u32 s4, 0
	s_wait_loadcnt 0x0
	v_wmma_f32_16x16x16_f16 v[0:7], v[19:22], v[23:26], v[0:7]
	s_cbranch_scc0 .LBB0_8
; %bb.9:
	s_branch .LBB0_12
.LBB0_10:
                                        ; implicit-def: $vgpr7
                                        ; implicit-def: $vgpr10
                                        ; implicit-def: $vgpr11
	s_cbranch_execz .LBB0_12
; %bb.11:
	v_dual_mov_b32 v0, 0 :: v_dual_and_b32 v11, 8, v18
	v_dual_mov_b32 v10, v17 :: v_dual_mov_b32 v1, 0
	v_dual_mov_b32 v2, 0 :: v_dual_mov_b32 v3, 0
	;; [unrolled: 1-line block ×4, first 2 shown]
.LBB0_12:
	s_load_b64 s[0:1], s[0:1], 0x10
	v_mad_co_u64_u32 v[12:13], null, v16, s2, v[9:10]
	v_mad_co_u64_u32 v[14:15], null, s2, v11, v[10:11]
	v_mov_b32_e32 v13, 0
	s_mul_i32 s4, s10, s11
	s_mov_b32 s5, 0
	s_wait_storecnt 0x0
	s_wait_alu 0xfffe
	s_lshl_b64 s[12:13], s[4:5], 2
	v_lshlrev_b64_e32 v[17:18], 2, v[12:13]
	v_dual_mov_b32 v15, v13 :: v_dual_add_nc_u32 v12, s2, v14
	s_barrier_signal -1
	s_barrier_wait -1
	global_inv scope:SCOPE_SE
	v_lshlrev_b64_e32 v[19:20], 2, v[12:13]
	v_add_nc_u32_e32 v12, s2, v12
	v_lshlrev_b64_e32 v[14:15], 2, v[14:15]
	s_mul_i32 s5, s9, s11
	s_wait_kmcnt 0x0
	s_wait_alu 0xfffe
	s_add_nc_u64 s[12:13], s[0:1], s[12:13]
	s_wait_alu 0xfffe
	v_add_co_u32 v25, vcc_lo, s12, v17
	s_wait_alu 0xfffd
	v_add_co_ci_u32_e64 v26, null, s13, v18, vcc_lo
	v_lshlrev_b64_e32 v[17:18], 2, v[12:13]
	v_add_nc_u32_e32 v12, s2, v12
	v_add_co_u32 v14, vcc_lo, v25, v14
	s_wait_alu 0xfffd
	v_add_co_ci_u32_e64 v15, null, v26, v15, vcc_lo
	s_delay_alu instid0(VALU_DEP_3)
	v_lshlrev_b64_e32 v[21:22], 2, v[12:13]
	v_add_nc_u32_e32 v12, s2, v12
	v_add_co_u32 v19, vcc_lo, v25, v19
	s_wait_alu 0xfffd
	v_add_co_ci_u32_e64 v20, null, v26, v20, vcc_lo
	v_add_co_u32 v17, vcc_lo, v25, v17
	v_lshlrev_b64_e32 v[23:24], 2, v[12:13]
	v_add_nc_u32_e32 v12, s2, v12
	s_wait_alu 0xfffd
	v_add_co_ci_u32_e64 v18, null, v26, v18, vcc_lo
	v_add_co_u32 v21, vcc_lo, v25, v21
	s_wait_alu 0xfffd
	v_add_co_ci_u32_e64 v22, null, v26, v22, vcc_lo
	s_clause 0x3
	global_store_b32 v[14:15], v0, off
	global_store_b32 v[19:20], v1, off
	;; [unrolled: 1-line block ×4, first 2 shown]
	v_lshlrev_b64_e32 v[0:1], 2, v[12:13]
	v_add_nc_u32_e32 v12, s2, v12
	v_add_co_u32 v14, vcc_lo, v25, v23
	s_wait_alu 0xfffd
	v_add_co_ci_u32_e64 v15, null, v26, v24, vcc_lo
	s_delay_alu instid0(VALU_DEP_3) | instskip(SKIP_4) | instid1(VALU_DEP_3)
	v_lshlrev_b64_e32 v[2:3], 2, v[12:13]
	v_add_nc_u32_e32 v12, s2, v12
	v_add_co_u32 v17, vcc_lo, v25, v0
	s_wait_alu 0xfffd
	v_add_co_ci_u32_e64 v18, null, v26, v1, vcc_lo
	v_lshlrev_b64_e32 v[0:1], 2, v[12:13]
	v_lshrrev_b32_e32 v19, 4, v8
	v_or_b32_e32 v8, v9, v10
	v_add_co_u32 v11, vcc_lo, v25, v2
	s_wait_alu 0xfffd
	v_add_co_ci_u32_e64 v12, null, v26, v3, vcc_lo
	v_and_or_b32 v2, v19, 1, v16
	v_add_co_u32 v9, vcc_lo, v25, v0
	v_add_nc_u32_e32 v0, s4, v8
	v_add3_u32 v3, s5, s3, v8
	s_wait_alu 0xfffd
	v_add_co_ci_u32_e64 v10, null, v26, v1, vcc_lo
	s_mov_b32 s3, exec_lo
	s_clause 0x3
	global_store_b32 v[14:15], v4, off
	global_store_b32 v[17:18], v5, off
	;; [unrolled: 1-line block ×4, first 2 shown]
	v_cmpx_gt_u32_e64 v2, v8
	s_cbranch_execz .LBB0_14
; %bb.13:
	v_mad_co_u64_u32 v[4:5], null, v2, s2, v[0:1]
	v_mov_b32_e32 v5, v13
	s_delay_alu instid0(VALU_DEP_1) | instskip(NEXT) | instid1(VALU_DEP_1)
	v_lshlrev_b64_e32 v[4:5], 2, v[4:5]
	v_add_co_u32 v4, vcc_lo, s0, v4
	s_wait_alu 0xfffd
	s_delay_alu instid0(VALU_DEP_2) | instskip(SKIP_2) | instid1(VALU_DEP_1)
	v_add_co_ci_u32_e64 v5, null, s1, v5, vcc_lo
	global_load_b32 v1, v[4:5], off
	v_add_nc_u32_e32 v4, -1, v2
	v_mul_lo_u32 v4, v4, v2
	s_delay_alu instid0(VALU_DEP_1) | instskip(NEXT) | instid1(VALU_DEP_1)
	v_lshrrev_b32_e32 v4, 1, v4
	v_add_nc_u32_e32 v12, v3, v4
	s_delay_alu instid0(VALU_DEP_1) | instskip(NEXT) | instid1(VALU_DEP_1)
	v_lshlrev_b64_e32 v[4:5], 1, v[12:13]
	v_add_co_u32 v4, vcc_lo, s6, v4
	s_wait_alu 0xfffd
	s_delay_alu instid0(VALU_DEP_2)
	v_add_co_ci_u32_e64 v5, null, s7, v5, vcc_lo
	s_wait_loadcnt 0x0
	v_cvt_f16_f32_e32 v1, v1
	global_store_b16 v[4:5], v1, off
.LBB0_14:
	s_wait_alu 0xfffe
	s_or_b32 exec_lo, exec_lo, s3
	v_or_b32_e32 v1, 2, v2
	s_mov_b32 s3, exec_lo
	s_delay_alu instid0(VALU_DEP_1)
	v_cmpx_gt_u32_e64 v1, v8
	s_cbranch_execz .LBB0_16
; %bb.15:
	v_mad_co_u64_u32 v[4:5], null, v1, s2, v[0:1]
	v_mov_b32_e32 v5, 0
	s_delay_alu instid0(VALU_DEP_1) | instskip(NEXT) | instid1(VALU_DEP_1)
	v_lshlrev_b64_e32 v[6:7], 2, v[4:5]
	v_add_co_u32 v6, vcc_lo, s0, v6
	s_wait_alu 0xfffd
	s_delay_alu instid0(VALU_DEP_2) | instskip(SKIP_2) | instid1(VALU_DEP_1)
	v_add_co_ci_u32_e64 v7, null, s1, v7, vcc_lo
	global_load_b32 v9, v[6:7], off
	v_mad_co_u64_u32 v[6:7], null, v1, v2, v[1:2]
	v_lshrrev_b32_e32 v1, 1, v6
	s_delay_alu instid0(VALU_DEP_1) | instskip(NEXT) | instid1(VALU_DEP_1)
	v_add_nc_u32_e32 v4, v3, v1
	v_lshlrev_b64_e32 v[4:5], 1, v[4:5]
	s_delay_alu instid0(VALU_DEP_1) | instskip(SKIP_1) | instid1(VALU_DEP_2)
	v_add_co_u32 v4, vcc_lo, s6, v4
	s_wait_alu 0xfffd
	v_add_co_ci_u32_e64 v5, null, s7, v5, vcc_lo
	s_wait_loadcnt 0x0
	v_cvt_f16_f32_e32 v1, v9
	global_store_b16 v[4:5], v1, off
.LBB0_16:
	s_wait_alu 0xfffe
	s_or_b32 exec_lo, exec_lo, s3
	v_or_b32_e32 v1, 4, v2
	s_mov_b32 s3, exec_lo
	s_delay_alu instid0(VALU_DEP_1)
	v_cmpx_gt_u32_e64 v1, v8
	s_cbranch_execz .LBB0_18
; %bb.17:
	v_mad_co_u64_u32 v[4:5], null, v1, s2, v[0:1]
	v_mov_b32_e32 v5, 0
	s_delay_alu instid0(VALU_DEP_1) | instskip(SKIP_1) | instid1(VALU_DEP_1)
	v_lshlrev_b64_e32 v[6:7], 2, v[4:5]
	v_add_nc_u32_e32 v4, 3, v2
	v_mul_lo_u32 v1, v4, v1
	s_delay_alu instid0(VALU_DEP_3) | instskip(SKIP_1) | instid1(VALU_DEP_4)
	v_add_co_u32 v6, vcc_lo, s0, v6
	s_wait_alu 0xfffd
	v_add_co_ci_u32_e64 v7, null, s1, v7, vcc_lo
	global_load_b32 v6, v[6:7], off
	v_lshrrev_b32_e32 v1, 1, v1
	s_delay_alu instid0(VALU_DEP_1) | instskip(NEXT) | instid1(VALU_DEP_1)
	v_add_nc_u32_e32 v4, v3, v1
	v_lshlrev_b64_e32 v[4:5], 1, v[4:5]
	s_delay_alu instid0(VALU_DEP_1) | instskip(SKIP_1) | instid1(VALU_DEP_2)
	v_add_co_u32 v4, vcc_lo, s6, v4
	s_wait_alu 0xfffd
	v_add_co_ci_u32_e64 v5, null, s7, v5, vcc_lo
	s_wait_loadcnt 0x0
	v_cvt_f16_f32_e32 v1, v6
	global_store_b16 v[4:5], v1, off
.LBB0_18:
	s_wait_alu 0xfffe
	s_or_b32 exec_lo, exec_lo, s3
	v_or_b32_e32 v1, 6, v2
	s_mov_b32 s3, exec_lo
	s_delay_alu instid0(VALU_DEP_1)
	v_cmpx_gt_u32_e64 v1, v8
	s_cbranch_execz .LBB0_20
; %bb.19:
	v_mad_co_u64_u32 v[4:5], null, v1, s2, v[0:1]
	v_mov_b32_e32 v5, 0
	s_delay_alu instid0(VALU_DEP_1) | instskip(SKIP_1) | instid1(VALU_DEP_1)
	v_lshlrev_b64_e32 v[6:7], 2, v[4:5]
	v_add_nc_u32_e32 v4, 5, v2
	v_mul_lo_u32 v1, v4, v1
	s_delay_alu instid0(VALU_DEP_3) | instskip(SKIP_1) | instid1(VALU_DEP_4)
	v_add_co_u32 v6, vcc_lo, s0, v6
	s_wait_alu 0xfffd
	v_add_co_ci_u32_e64 v7, null, s1, v7, vcc_lo
	global_load_b32 v6, v[6:7], off
	v_lshrrev_b32_e32 v1, 1, v1
	s_delay_alu instid0(VALU_DEP_1) | instskip(NEXT) | instid1(VALU_DEP_1)
	v_add_nc_u32_e32 v4, v3, v1
	v_lshlrev_b64_e32 v[4:5], 1, v[4:5]
	s_delay_alu instid0(VALU_DEP_1) | instskip(SKIP_1) | instid1(VALU_DEP_2)
	v_add_co_u32 v4, vcc_lo, s6, v4
	s_wait_alu 0xfffd
	v_add_co_ci_u32_e64 v5, null, s7, v5, vcc_lo
	s_wait_loadcnt 0x0
	v_cvt_f16_f32_e32 v1, v6
	global_store_b16 v[4:5], v1, off
.LBB0_20:
	;; [unrolled: 31-line block ×5, first 2 shown]
	s_wait_alu 0xfffe
	s_or_b32 exec_lo, exec_lo, s3
	v_or_b32_e32 v1, 14, v2
	s_delay_alu instid0(VALU_DEP_1)
	v_cmp_gt_u32_e32 vcc_lo, v1, v8
	s_and_b32 exec_lo, exec_lo, vcc_lo
	s_cbranch_execz .LBB0_28
; %bb.27:
	v_mad_co_u64_u32 v[4:5], null, v1, s2, v[0:1]
	v_dual_mov_b32 v5, 0 :: v_dual_add_nc_u32 v0, 13, v2
	s_delay_alu instid0(VALU_DEP_1) | instskip(NEXT) | instid1(VALU_DEP_2)
	v_mul_lo_u32 v0, v0, v1
	v_lshlrev_b64_e32 v[6:7], 2, v[4:5]
	s_delay_alu instid0(VALU_DEP_1) | instskip(SKIP_1) | instid1(VALU_DEP_2)
	v_add_co_u32 v6, vcc_lo, s0, v6
	s_wait_alu 0xfffd
	v_add_co_ci_u32_e64 v7, null, s1, v7, vcc_lo
	s_delay_alu instid0(VALU_DEP_4) | instskip(SKIP_2) | instid1(VALU_DEP_1)
	v_lshrrev_b32_e32 v0, 1, v0
	global_load_b32 v6, v[6:7], off
	v_add_nc_u32_e32 v4, v3, v0
	v_lshlrev_b64_e32 v[0:1], 1, v[4:5]
	s_delay_alu instid0(VALU_DEP_1) | instskip(SKIP_1) | instid1(VALU_DEP_2)
	v_add_co_u32 v0, vcc_lo, s6, v0
	s_wait_alu 0xfffd
	v_add_co_ci_u32_e64 v1, null, s7, v1, vcc_lo
	s_wait_loadcnt 0x0
	v_cvt_f16_f32_e32 v2, v6
	global_store_b16 v[0:1], v2, off
.LBB0_28:
	s_endpgm
	.section	.rodata,"a",@progbits
	.p2align	6, 0x0
	.amdhsa_kernel _Z12dlrm_dot_fwdPKDF16_PDF16_Pfjjjjjj
		.amdhsa_group_segment_fixed_size 0
		.amdhsa_private_segment_fixed_size 0
		.amdhsa_kernarg_size 304
		.amdhsa_user_sgpr_count 2
		.amdhsa_user_sgpr_dispatch_ptr 0
		.amdhsa_user_sgpr_queue_ptr 0
		.amdhsa_user_sgpr_kernarg_segment_ptr 1
		.amdhsa_user_sgpr_dispatch_id 0
		.amdhsa_user_sgpr_private_segment_size 0
		.amdhsa_wavefront_size32 1
		.amdhsa_uses_dynamic_stack 0
		.amdhsa_enable_private_segment 0
		.amdhsa_system_sgpr_workgroup_id_x 1
		.amdhsa_system_sgpr_workgroup_id_y 1
		.amdhsa_system_sgpr_workgroup_id_z 1
		.amdhsa_system_sgpr_workgroup_info 0
		.amdhsa_system_vgpr_workitem_id 1
		.amdhsa_next_free_vgpr 27
		.amdhsa_next_free_sgpr 19
		.amdhsa_reserve_vcc 1
		.amdhsa_float_round_mode_32 0
		.amdhsa_float_round_mode_16_64 0
		.amdhsa_float_denorm_mode_32 3
		.amdhsa_float_denorm_mode_16_64 3
		.amdhsa_fp16_overflow 0
		.amdhsa_workgroup_processor_mode 1
		.amdhsa_memory_ordered 1
		.amdhsa_forward_progress 1
		.amdhsa_inst_pref_size 20
		.amdhsa_round_robin_scheduling 0
		.amdhsa_exception_fp_ieee_invalid_op 0
		.amdhsa_exception_fp_denorm_src 0
		.amdhsa_exception_fp_ieee_div_zero 0
		.amdhsa_exception_fp_ieee_overflow 0
		.amdhsa_exception_fp_ieee_underflow 0
		.amdhsa_exception_fp_ieee_inexact 0
		.amdhsa_exception_int_div_zero 0
	.end_amdhsa_kernel
	.text
.Lfunc_end0:
	.size	_Z12dlrm_dot_fwdPKDF16_PDF16_Pfjjjjjj, .Lfunc_end0-_Z12dlrm_dot_fwdPKDF16_PDF16_Pfjjjjjj
                                        ; -- End function
	.set _Z12dlrm_dot_fwdPKDF16_PDF16_Pfjjjjjj.num_vgpr, 27
	.set _Z12dlrm_dot_fwdPKDF16_PDF16_Pfjjjjjj.num_agpr, 0
	.set _Z12dlrm_dot_fwdPKDF16_PDF16_Pfjjjjjj.numbered_sgpr, 19
	.set _Z12dlrm_dot_fwdPKDF16_PDF16_Pfjjjjjj.num_named_barrier, 0
	.set _Z12dlrm_dot_fwdPKDF16_PDF16_Pfjjjjjj.private_seg_size, 0
	.set _Z12dlrm_dot_fwdPKDF16_PDF16_Pfjjjjjj.uses_vcc, 1
	.set _Z12dlrm_dot_fwdPKDF16_PDF16_Pfjjjjjj.uses_flat_scratch, 0
	.set _Z12dlrm_dot_fwdPKDF16_PDF16_Pfjjjjjj.has_dyn_sized_stack, 0
	.set _Z12dlrm_dot_fwdPKDF16_PDF16_Pfjjjjjj.has_recursion, 0
	.set _Z12dlrm_dot_fwdPKDF16_PDF16_Pfjjjjjj.has_indirect_call, 0
	.section	.AMDGPU.csdata,"",@progbits
; Kernel info:
; codeLenInByte = 2532
; TotalNumSgprs: 21
; NumVgprs: 27
; ScratchSize: 0
; MemoryBound: 0
; FloatMode: 240
; IeeeMode: 1
; LDSByteSize: 0 bytes/workgroup (compile time only)
; SGPRBlocks: 0
; VGPRBlocks: 3
; NumSGPRsForWavesPerEU: 21
; NumVGPRsForWavesPerEU: 27
; Occupancy: 16
; WaveLimiterHint : 0
; COMPUTE_PGM_RSRC2:SCRATCH_EN: 0
; COMPUTE_PGM_RSRC2:USER_SGPR: 2
; COMPUTE_PGM_RSRC2:TRAP_HANDLER: 0
; COMPUTE_PGM_RSRC2:TGID_X_EN: 1
; COMPUTE_PGM_RSRC2:TGID_Y_EN: 1
; COMPUTE_PGM_RSRC2:TGID_Z_EN: 1
; COMPUTE_PGM_RSRC2:TIDIG_COMP_CNT: 1
	.text
	.p2alignl 7, 3214868480
	.fill 96, 4, 3214868480
	.section	.AMDGPU.gpr_maximums,"",@progbits
	.set amdgpu.max_num_vgpr, 0
	.set amdgpu.max_num_agpr, 0
	.set amdgpu.max_num_sgpr, 0
	.text
	.type	__hip_cuid_e50757cee116d7f4,@object ; @__hip_cuid_e50757cee116d7f4
	.section	.bss,"aw",@nobits
	.globl	__hip_cuid_e50757cee116d7f4
__hip_cuid_e50757cee116d7f4:
	.byte	0                               ; 0x0
	.size	__hip_cuid_e50757cee116d7f4, 1

	.ident	"AMD clang version 22.0.0git (https://github.com/RadeonOpenCompute/llvm-project roc-7.2.4 26084 f58b06dce1f9c15707c5f808fd002e18c2accf7e)"
	.section	".note.GNU-stack","",@progbits
	.addrsig
	.addrsig_sym __hip_cuid_e50757cee116d7f4
	.amdgpu_metadata
---
amdhsa.kernels:
  - .args:
      - .actual_access:  read_only
        .address_space:  global
        .offset:         0
        .size:           8
        .value_kind:     global_buffer
      - .actual_access:  write_only
        .address_space:  global
        .offset:         8
        .size:           8
        .value_kind:     global_buffer
      - .address_space:  global
        .offset:         16
        .size:           8
        .value_kind:     global_buffer
      - .offset:         24
        .size:           4
        .value_kind:     by_value
      - .offset:         28
        .size:           4
        .value_kind:     by_value
      - .offset:         32
        .size:           4
        .value_kind:     by_value
      - .offset:         36
        .size:           4
        .value_kind:     by_value
      - .offset:         40
        .size:           4
        .value_kind:     by_value
      - .offset:         44
        .size:           4
        .value_kind:     by_value
      - .offset:         48
        .size:           4
        .value_kind:     hidden_block_count_x
      - .offset:         52
        .size:           4
        .value_kind:     hidden_block_count_y
      - .offset:         56
        .size:           4
        .value_kind:     hidden_block_count_z
      - .offset:         60
        .size:           2
        .value_kind:     hidden_group_size_x
      - .offset:         62
        .size:           2
        .value_kind:     hidden_group_size_y
      - .offset:         64
        .size:           2
        .value_kind:     hidden_group_size_z
      - .offset:         66
        .size:           2
        .value_kind:     hidden_remainder_x
      - .offset:         68
        .size:           2
        .value_kind:     hidden_remainder_y
      - .offset:         70
        .size:           2
        .value_kind:     hidden_remainder_z
      - .offset:         88
        .size:           8
        .value_kind:     hidden_global_offset_x
      - .offset:         96
        .size:           8
        .value_kind:     hidden_global_offset_y
      - .offset:         104
        .size:           8
        .value_kind:     hidden_global_offset_z
      - .offset:         112
        .size:           2
        .value_kind:     hidden_grid_dims
    .group_segment_fixed_size: 0
    .kernarg_segment_align: 8
    .kernarg_segment_size: 304
    .language:       OpenCL C
    .language_version:
      - 2
      - 0
    .max_flat_workgroup_size: 1024
    .name:           _Z12dlrm_dot_fwdPKDF16_PDF16_Pfjjjjjj
    .private_segment_fixed_size: 0
    .sgpr_count:     21
    .sgpr_spill_count: 0
    .symbol:         _Z12dlrm_dot_fwdPKDF16_PDF16_Pfjjjjjj.kd
    .uniform_work_group_size: 1
    .uses_dynamic_stack: false
    .vgpr_count:     27
    .vgpr_spill_count: 0
    .wavefront_size: 32
    .workgroup_processor_mode: 1
amdhsa.target:   amdgcn-amd-amdhsa--gfx1201
amdhsa.version:
  - 1
  - 2
...

	.end_amdgpu_metadata
